;; amdgpu-corpus repo=ggml-org/llama.cpp kind=compiled arch=gfx906 opt=O3
	.amdgcn_target "amdgcn-amd-amdhsa--gfx906"
	.amdhsa_code_object_version 6
	.section	.text._ZL22cross_entropy_loss_f32ILb1EEvPKfS1_Pfii,"axG",@progbits,_ZL22cross_entropy_loss_f32ILb1EEvPKfS1_Pfii,comdat
	.globl	_ZL22cross_entropy_loss_f32ILb1EEvPKfS1_Pfii ; -- Begin function _ZL22cross_entropy_loss_f32ILb1EEvPKfS1_Pfii
	.p2align	8
	.type	_ZL22cross_entropy_loss_f32ILb1EEvPKfS1_Pfii,@function
_ZL22cross_entropy_loss_f32ILb1EEvPKfS1_Pfii: ; @_ZL22cross_entropy_loss_f32ILb1EEvPKfS1_Pfii
; %bb.0:
	s_load_dwordx2 s[2:3], s[4:5], 0x18
	s_load_dwordx4 s[8:11], s[4:5], 0x8
	s_mov_b32 s7, 0
	v_mov_b32_e32 v5, 0xff800000
	v_lshlrev_b32_e32 v3, 2, v0
	s_waitcnt lgkmcnt(0)
	s_ashr_i32 s16, s2, 31
	v_cmp_gt_i32_e64 s[0:1], s2, v0
	s_mul_i32 s16, s16, s6
	s_mul_hi_u32 s17, s2, s6
	s_mul_i32 s12, s2, s6
	s_and_saveexec_b64 s[14:15], s[0:1]
	s_cbranch_execz .LBB0_4
; %bb.1:
	s_load_dwordx2 s[4:5], s[4:5], 0x0
	s_add_i32 s13, s17, s16
	s_lshl_b64 s[18:19], s[12:13], 2
	v_add_u32_e32 v4, 0, v3
	v_mov_b32_e32 v5, 0xff800000
	s_waitcnt lgkmcnt(0)
	s_add_u32 s4, s4, s18
	s_addc_u32 s5, s5, s19
	v_mov_b32_e32 v2, s5
	v_add_co_u32_e32 v1, vcc, s4, v3
	v_addc_co_u32_e32 v2, vcc, 0, v2, vcc
	s_mov_b64 s[4:5], 0
	v_mov_b32_e32 v6, v0
.LBB0_2:                                ; =>This Inner Loop Header: Depth=1
	global_load_dword v7, v[1:2], off
	v_add_co_u32_e32 v1, vcc, 0x80, v1
	v_add_u32_e32 v6, 32, v6
	v_addc_co_u32_e32 v2, vcc, 0, v2, vcc
	v_max_f32_e32 v5, v5, v5
	v_cmp_le_i32_e32 vcc, s2, v6
	s_or_b64 s[4:5], vcc, s[4:5]
	s_waitcnt vmcnt(0)
	v_max_f32_e32 v8, v7, v7
	ds_write_b32 v4, v7
	v_add_u32_e32 v4, 0x80, v4
	v_max_f32_e32 v5, v5, v8
	s_andn2_b64 exec, exec, s[4:5]
	s_cbranch_execnz .LBB0_2
; %bb.3:
	s_or_b64 exec, exec, s[4:5]
.LBB0_4:
	s_or_b64 exec, exec, s[14:15]
	v_mbcnt_lo_u32_b32 v1, -1, 0
	v_mbcnt_hi_u32_b32 v1, -1, v1
	v_and_b32_e32 v2, 0x60, v1
	v_add_u32_e32 v2, 32, v2
	v_xor_b32_e32 v4, 16, v1
	v_cmp_lt_i32_e32 vcc, v4, v2
	v_cndmask_b32_e32 v4, v1, v4, vcc
	v_lshlrev_b32_e32 v4, 2, v4
	ds_bpermute_b32 v6, v4, v5
	v_xor_b32_e32 v7, 8, v1
	v_max_f32_e32 v5, v5, v5
	v_cmp_lt_i32_e32 vcc, v7, v2
	v_xor_b32_e32 v8, 4, v1
	s_waitcnt lgkmcnt(0)
	v_max_f32_e32 v6, v6, v6
	v_max_f32_e32 v6, v5, v6
	v_cndmask_b32_e32 v5, v1, v7, vcc
	v_lshlrev_b32_e32 v5, 2, v5
	ds_bpermute_b32 v7, v5, v6
	v_cmp_lt_i32_e32 vcc, v8, v2
	v_xor_b32_e32 v9, 2, v1
	v_xor_b32_e32 v10, 1, v1
	s_waitcnt lgkmcnt(0)
	v_max_f32_e32 v7, v7, v7
	v_max_f32_e32 v7, v6, v7
	v_cndmask_b32_e32 v6, v1, v8, vcc
	v_lshlrev_b32_e32 v6, 2, v6
	ds_bpermute_b32 v8, v6, v7
	v_cmp_lt_i32_e32 vcc, v9, v2
	s_waitcnt lgkmcnt(0)
	v_max_f32_e32 v8, v8, v8
	v_max_f32_e32 v8, v7, v8
	v_cndmask_b32_e32 v7, v1, v9, vcc
	v_lshlrev_b32_e32 v7, 2, v7
	ds_bpermute_b32 v9, v7, v8
	v_cmp_lt_i32_e32 vcc, v10, v2
	v_cndmask_b32_e32 v1, v1, v10, vcc
	s_waitcnt lgkmcnt(0)
	v_max_f32_e32 v9, v9, v9
	v_max_f32_e32 v9, v8, v9
	v_lshlrev_b32_e32 v8, 2, v1
	ds_bpermute_b32 v1, v8, v9
	s_waitcnt lgkmcnt(0)
	v_max_f32_e32 v1, v1, v1
	v_max_f32_e32 v9, v9, v1
	v_mov_b32_e32 v1, 0
	s_and_saveexec_b64 s[4:5], s[0:1]
	s_cbranch_execz .LBB0_8
; %bb.5:
	v_lshl_add_u32 v2, v0, 2, 0
	v_mov_b32_e32 v1, 0
	s_mov_b64 s[14:15], 0
	s_mov_b32 s13, 0x3fb8aa3b
	s_mov_b32 s18, 0xc2ce8ed0
	;; [unrolled: 1-line block ×3, first 2 shown]
	v_mov_b32_e32 v10, 0x7f800000
	v_mov_b32_e32 v11, v0
.LBB0_6:                                ; =>This Inner Loop Header: Depth=1
	ds_read_b32 v12, v2
	v_add_u32_e32 v11, 32, v11
	v_cmp_le_i32_e32 vcc, s2, v11
	s_or_b64 s[14:15], vcc, s[14:15]
	v_add_u32_e32 v2, 0x80, v2
	s_waitcnt lgkmcnt(0)
	v_sub_f32_e32 v12, v12, v9
	v_mul_f32_e32 v13, 0x3fb8aa3b, v12
	v_fma_f32 v14, v12, s13, -v13
	v_rndne_f32_e32 v15, v13
	v_fmac_f32_e32 v14, 0x32a5705f, v12
	v_sub_f32_e32 v13, v13, v15
	v_add_f32_e32 v13, v13, v14
	v_cvt_i32_f32_e32 v15, v15
	v_exp_f32_e32 v13, v13
	v_cmp_ngt_f32_e32 vcc, s18, v12
	v_ldexp_f32 v13, v13, v15
	v_cndmask_b32_e32 v13, 0, v13, vcc
	v_cmp_nlt_f32_e32 vcc, s19, v12
	v_cndmask_b32_e32 v12, v10, v13, vcc
	v_add_f32_e32 v1, v1, v12
	s_andn2_b64 exec, exec, s[14:15]
	s_cbranch_execnz .LBB0_6
; %bb.7:
	s_or_b64 exec, exec, s[14:15]
.LBB0_8:
	s_or_b64 exec, exec, s[4:5]
	ds_bpermute_b32 v2, v4, v1
	v_mov_b32_e32 v10, 0
	s_waitcnt lgkmcnt(0)
	v_add_f32_e32 v1, v1, v2
	ds_bpermute_b32 v2, v5, v1
	s_waitcnt lgkmcnt(0)
	v_add_f32_e32 v1, v1, v2
	ds_bpermute_b32 v2, v6, v1
	;; [unrolled: 3-line block ×4, first 2 shown]
	s_and_saveexec_b64 s[4:5], s[0:1]
	s_cbranch_execz .LBB0_12
; %bb.9:
	s_waitcnt lgkmcnt(0)
	v_add_f32_e32 v1, v1, v2
	s_mov_b32 s0, 0x800000
	v_cmp_gt_f32_e32 vcc, s0, v1
	v_cndmask_b32_e64 v2, 0, 32, vcc
	v_ldexp_f32 v1, v1, v2
	v_log_f32_e32 v1, v1
	s_mov_b32 s0, 0x3f317217
	s_add_i32 s13, s17, s16
	v_mov_b32_e32 v10, 0
	v_mul_f32_e32 v2, 0x3f317217, v1
	v_fma_f32 v2, v1, s0, -v2
	v_fmac_f32_e32 v2, 0x3377d1cf, v1
	s_mov_b32 s0, 0x7f800000
	v_fmac_f32_e32 v2, 0x3f317217, v1
	v_cmp_lt_f32_e64 s[0:1], |v1|, s0
	v_cndmask_b32_e64 v1, v1, v2, s[0:1]
	s_lshl_b64 s[0:1], s[12:13], 2
	v_mov_b32_e32 v2, 0x41b17218
	s_add_u32 s0, s8, s0
	v_cndmask_b32_e32 v2, 0, v2, vcc
	s_addc_u32 s1, s9, s1
	v_sub_f32_e32 v11, v1, v2
	v_mov_b32_e32 v2, s1
	v_add_co_u32_e32 v1, vcc, s0, v3
	v_addc_co_u32_e32 v2, vcc, 0, v2, vcc
	v_add_u32_e32 v3, 0, v3
	s_mov_b64 s[0:1], 0
	v_mov_b32_e32 v12, v0
.LBB0_10:                               ; =>This Inner Loop Header: Depth=1
	global_load_dword v13, v[1:2], off
	ds_read_b32 v14, v3
	v_add_co_u32_e32 v1, vcc, 0x80, v1
	v_add_u32_e32 v12, 32, v12
	v_addc_co_u32_e32 v2, vcc, 0, v2, vcc
	s_waitcnt lgkmcnt(0)
	v_sub_f32_e32 v14, v14, v9
	v_cmp_le_i32_e32 vcc, s2, v12
	v_sub_f32_e32 v14, v14, v11
	v_add_u32_e32 v3, 0x80, v3
	s_or_b64 s[0:1], vcc, s[0:1]
	s_waitcnt vmcnt(0)
	v_fmac_f32_e32 v10, v13, v14
	s_andn2_b64 exec, exec, s[0:1]
	s_cbranch_execnz .LBB0_10
; %bb.11:
	s_or_b64 exec, exec, s[0:1]
.LBB0_12:
	s_or_b64 exec, exec, s[4:5]
	ds_bpermute_b32 v1, v4, v10
	v_cmp_eq_u32_e32 vcc, 0, v0
	s_waitcnt lgkmcnt(0)
	v_add_f32_e32 v1, v10, v1
	ds_bpermute_b32 v2, v5, v1
	s_waitcnt lgkmcnt(0)
	v_add_f32_e32 v1, v1, v2
	ds_bpermute_b32 v2, v6, v1
	;; [unrolled: 3-line block ×4, first 2 shown]
	s_and_saveexec_b64 s[0:1], vcc
	s_cbranch_execz .LBB0_14
; %bb.13:
	v_cvt_f32_i32_e32 v0, s3
	s_waitcnt lgkmcnt(0)
	v_add_f32_e32 v1, v1, v2
	v_div_scale_f32 v2, s[0:1], v0, v0, -v1
	v_div_scale_f32 v3, vcc, -v1, v0, -v1
	s_lshl_b64 s[0:1], s[6:7], 2
	s_add_u32 s0, s10, s0
	s_addc_u32 s1, s11, s1
	v_rcp_f32_e32 v4, v2
	v_fma_f32 v5, -v2, v4, 1.0
	v_fmac_f32_e32 v4, v5, v4
	v_mul_f32_e32 v5, v3, v4
	v_fma_f32 v6, -v2, v5, v3
	v_fmac_f32_e32 v5, v6, v4
	v_fma_f32 v2, -v2, v5, v3
	v_div_fmas_f32 v2, v2, v4, v5
	v_div_fixup_f32 v0, v2, v0, -v1
	v_mov_b32_e32 v1, 0
	global_store_dword v1, v0, s[0:1]
.LBB0_14:
	s_endpgm
	.section	.rodata,"a",@progbits
	.p2align	6, 0x0
	.amdhsa_kernel _ZL22cross_entropy_loss_f32ILb1EEvPKfS1_Pfii
		.amdhsa_group_segment_fixed_size 0
		.amdhsa_private_segment_fixed_size 0
		.amdhsa_kernarg_size 32
		.amdhsa_user_sgpr_count 6
		.amdhsa_user_sgpr_private_segment_buffer 1
		.amdhsa_user_sgpr_dispatch_ptr 0
		.amdhsa_user_sgpr_queue_ptr 0
		.amdhsa_user_sgpr_kernarg_segment_ptr 1
		.amdhsa_user_sgpr_dispatch_id 0
		.amdhsa_user_sgpr_flat_scratch_init 0
		.amdhsa_user_sgpr_private_segment_size 0
		.amdhsa_uses_dynamic_stack 0
		.amdhsa_system_sgpr_private_segment_wavefront_offset 0
		.amdhsa_system_sgpr_workgroup_id_x 1
		.amdhsa_system_sgpr_workgroup_id_y 0
		.amdhsa_system_sgpr_workgroup_id_z 0
		.amdhsa_system_sgpr_workgroup_info 0
		.amdhsa_system_vgpr_workitem_id 0
		.amdhsa_next_free_vgpr 16
		.amdhsa_next_free_sgpr 20
		.amdhsa_reserve_vcc 1
		.amdhsa_reserve_flat_scratch 0
		.amdhsa_float_round_mode_32 0
		.amdhsa_float_round_mode_16_64 0
		.amdhsa_float_denorm_mode_32 3
		.amdhsa_float_denorm_mode_16_64 3
		.amdhsa_dx10_clamp 1
		.amdhsa_ieee_mode 1
		.amdhsa_fp16_overflow 0
		.amdhsa_exception_fp_ieee_invalid_op 0
		.amdhsa_exception_fp_denorm_src 0
		.amdhsa_exception_fp_ieee_div_zero 0
		.amdhsa_exception_fp_ieee_overflow 0
		.amdhsa_exception_fp_ieee_underflow 0
		.amdhsa_exception_fp_ieee_inexact 0
		.amdhsa_exception_int_div_zero 0
	.end_amdhsa_kernel
	.section	.text._ZL22cross_entropy_loss_f32ILb1EEvPKfS1_Pfii,"axG",@progbits,_ZL22cross_entropy_loss_f32ILb1EEvPKfS1_Pfii,comdat
.Lfunc_end0:
	.size	_ZL22cross_entropy_loss_f32ILb1EEvPKfS1_Pfii, .Lfunc_end0-_ZL22cross_entropy_loss_f32ILb1EEvPKfS1_Pfii
                                        ; -- End function
	.set _ZL22cross_entropy_loss_f32ILb1EEvPKfS1_Pfii.num_vgpr, 16
	.set _ZL22cross_entropy_loss_f32ILb1EEvPKfS1_Pfii.num_agpr, 0
	.set _ZL22cross_entropy_loss_f32ILb1EEvPKfS1_Pfii.numbered_sgpr, 20
	.set _ZL22cross_entropy_loss_f32ILb1EEvPKfS1_Pfii.num_named_barrier, 0
	.set _ZL22cross_entropy_loss_f32ILb1EEvPKfS1_Pfii.private_seg_size, 0
	.set _ZL22cross_entropy_loss_f32ILb1EEvPKfS1_Pfii.uses_vcc, 1
	.set _ZL22cross_entropy_loss_f32ILb1EEvPKfS1_Pfii.uses_flat_scratch, 0
	.set _ZL22cross_entropy_loss_f32ILb1EEvPKfS1_Pfii.has_dyn_sized_stack, 0
	.set _ZL22cross_entropy_loss_f32ILb1EEvPKfS1_Pfii.has_recursion, 0
	.set _ZL22cross_entropy_loss_f32ILb1EEvPKfS1_Pfii.has_indirect_call, 0
	.section	.AMDGPU.csdata,"",@progbits
; Kernel info:
; codeLenInByte = 1136
; TotalNumSgprs: 24
; NumVgprs: 16
; ScratchSize: 0
; MemoryBound: 0
; FloatMode: 240
; IeeeMode: 1
; LDSByteSize: 0 bytes/workgroup (compile time only)
; SGPRBlocks: 2
; VGPRBlocks: 3
; NumSGPRsForWavesPerEU: 24
; NumVGPRsForWavesPerEU: 16
; Occupancy: 10
; WaveLimiterHint : 0
; COMPUTE_PGM_RSRC2:SCRATCH_EN: 0
; COMPUTE_PGM_RSRC2:USER_SGPR: 6
; COMPUTE_PGM_RSRC2:TRAP_HANDLER: 0
; COMPUTE_PGM_RSRC2:TGID_X_EN: 1
; COMPUTE_PGM_RSRC2:TGID_Y_EN: 0
; COMPUTE_PGM_RSRC2:TGID_Z_EN: 0
; COMPUTE_PGM_RSRC2:TIDIG_COMP_CNT: 0
	.section	.text._ZL22cross_entropy_loss_f32ILb0EEvPKfS1_Pfii,"axG",@progbits,_ZL22cross_entropy_loss_f32ILb0EEvPKfS1_Pfii,comdat
	.globl	_ZL22cross_entropy_loss_f32ILb0EEvPKfS1_Pfii ; -- Begin function _ZL22cross_entropy_loss_f32ILb0EEvPKfS1_Pfii
	.p2align	8
	.type	_ZL22cross_entropy_loss_f32ILb0EEvPKfS1_Pfii,@function
_ZL22cross_entropy_loss_f32ILb0EEvPKfS1_Pfii: ; @_ZL22cross_entropy_loss_f32ILb0EEvPKfS1_Pfii
; %bb.0:
	s_load_dwordx8 s[8:15], s[4:5], 0x0
	s_mov_b32 s7, 0
	v_mov_b32_e32 v4, 0xff800000
	v_lshlrev_b32_e32 v3, 2, v0
	s_waitcnt lgkmcnt(0)
	s_ashr_i32 s18, s14, 31
	v_cmp_gt_i32_e64 s[0:1], s14, v0
	s_mul_i32 s18, s18, s6
	s_mul_hi_u32 s19, s14, s6
	s_mul_i32 s2, s14, s6
	s_and_saveexec_b64 s[4:5], s[0:1]
	s_cbranch_execz .LBB1_4
; %bb.1:
	s_add_i32 s3, s19, s18
	s_lshl_b64 s[16:17], s[2:3], 2
	s_add_u32 s3, s8, s16
	s_addc_u32 s16, s9, s17
	v_mov_b32_e32 v2, s16
	v_add_co_u32_e32 v1, vcc, s3, v3
	v_addc_co_u32_e32 v2, vcc, 0, v2, vcc
	v_mov_b32_e32 v4, 0xff800000
	s_mov_b64 s[16:17], 0
	v_mov_b32_e32 v5, v0
.LBB1_2:                                ; =>This Inner Loop Header: Depth=1
	global_load_dword v6, v[1:2], off
	v_add_co_u32_e32 v1, vcc, 0x80, v1
	v_add_u32_e32 v5, 32, v5
	v_addc_co_u32_e32 v2, vcc, 0, v2, vcc
	v_max_f32_e32 v4, v4, v4
	v_cmp_le_i32_e32 vcc, s14, v5
	s_or_b64 s[16:17], vcc, s[16:17]
	s_waitcnt vmcnt(0)
	v_max_f32_e32 v6, v6, v6
	v_max_f32_e32 v4, v4, v6
	s_andn2_b64 exec, exec, s[16:17]
	s_cbranch_execnz .LBB1_2
; %bb.3:
	s_or_b64 exec, exec, s[16:17]
.LBB1_4:
	s_or_b64 exec, exec, s[4:5]
	v_mbcnt_lo_u32_b32 v1, -1, 0
	v_mbcnt_hi_u32_b32 v1, -1, v1
	v_and_b32_e32 v2, 0x60, v1
	v_add_u32_e32 v2, 32, v2
	v_xor_b32_e32 v5, 16, v1
	v_cmp_lt_i32_e32 vcc, v5, v2
	v_cndmask_b32_e32 v5, v1, v5, vcc
	v_lshlrev_b32_e32 v5, 2, v5
	ds_bpermute_b32 v6, v5, v4
	v_xor_b32_e32 v7, 8, v1
	v_max_f32_e32 v4, v4, v4
	v_cmp_lt_i32_e32 vcc, v7, v2
	v_xor_b32_e32 v8, 4, v1
	s_waitcnt lgkmcnt(0)
	v_max_f32_e32 v6, v6, v6
	v_max_f32_e32 v4, v4, v6
	v_cndmask_b32_e32 v6, v1, v7, vcc
	v_lshlrev_b32_e32 v6, 2, v6
	ds_bpermute_b32 v7, v6, v4
	v_cmp_lt_i32_e32 vcc, v8, v2
	v_xor_b32_e32 v9, 2, v1
	v_xor_b32_e32 v10, 1, v1
	s_waitcnt lgkmcnt(0)
	v_max_f32_e32 v7, v7, v7
	v_max_f32_e32 v4, v4, v7
	v_cndmask_b32_e32 v7, v1, v8, vcc
	v_lshlrev_b32_e32 v7, 2, v7
	ds_bpermute_b32 v8, v7, v4
	v_cmp_lt_i32_e32 vcc, v9, v2
	s_waitcnt lgkmcnt(0)
	v_max_f32_e32 v8, v8, v8
	v_max_f32_e32 v4, v4, v8
	v_cndmask_b32_e32 v8, v1, v9, vcc
	v_lshlrev_b32_e32 v8, 2, v8
	ds_bpermute_b32 v9, v8, v4
	v_cmp_lt_i32_e32 vcc, v10, v2
	v_cndmask_b32_e32 v1, v1, v10, vcc
	s_waitcnt lgkmcnt(0)
	v_max_f32_e32 v9, v9, v9
	v_max_f32_e32 v4, v4, v9
	v_lshlrev_b32_e32 v9, 2, v1
	ds_bpermute_b32 v1, v9, v4
	s_waitcnt lgkmcnt(0)
	v_max_f32_e32 v1, v1, v1
	v_max_f32_e32 v10, v4, v1
	v_mov_b32_e32 v4, 0
	s_and_saveexec_b64 s[4:5], s[0:1]
	s_cbranch_execz .LBB1_8
; %bb.5:
	s_add_i32 s3, s19, s18
	s_lshl_b64 s[16:17], s[2:3], 2
	s_add_u32 s3, s8, s16
	s_addc_u32 s16, s9, s17
	v_mov_b32_e32 v2, s16
	v_add_co_u32_e32 v1, vcc, s3, v3
	v_mov_b32_e32 v4, 0
	v_addc_co_u32_e32 v2, vcc, 0, v2, vcc
	s_mov_b64 s[16:17], 0
	s_mov_b32 s3, 0x3fb8aa3b
	s_mov_b32 s20, 0xc2ce8ed0
	;; [unrolled: 1-line block ×3, first 2 shown]
	v_mov_b32_e32 v11, 0x7f800000
	v_mov_b32_e32 v12, v0
.LBB1_6:                                ; =>This Inner Loop Header: Depth=1
	global_load_dword v13, v[1:2], off
	v_add_co_u32_e32 v1, vcc, 0x80, v1
	v_add_u32_e32 v12, 32, v12
	v_addc_co_u32_e32 v2, vcc, 0, v2, vcc
	v_cmp_le_i32_e32 vcc, s14, v12
	s_or_b64 s[16:17], vcc, s[16:17]
	s_waitcnt vmcnt(0)
	v_sub_f32_e32 v13, v13, v10
	v_mul_f32_e32 v14, 0x3fb8aa3b, v13
	v_fma_f32 v15, v13, s3, -v14
	v_rndne_f32_e32 v16, v14
	v_fmac_f32_e32 v15, 0x32a5705f, v13
	v_sub_f32_e32 v14, v14, v16
	v_add_f32_e32 v14, v14, v15
	v_cvt_i32_f32_e32 v16, v16
	v_exp_f32_e32 v14, v14
	v_cmp_ngt_f32_e32 vcc, s20, v13
	v_ldexp_f32 v14, v14, v16
	v_cndmask_b32_e32 v14, 0, v14, vcc
	v_cmp_nlt_f32_e32 vcc, s21, v13
	v_cndmask_b32_e32 v13, v11, v14, vcc
	v_add_f32_e32 v4, v4, v13
	s_andn2_b64 exec, exec, s[16:17]
	s_cbranch_execnz .LBB1_6
; %bb.7:
	s_or_b64 exec, exec, s[16:17]
.LBB1_8:
	s_or_b64 exec, exec, s[4:5]
	ds_bpermute_b32 v1, v5, v4
	v_mov_b32_e32 v11, 0
	s_waitcnt lgkmcnt(0)
	v_add_f32_e32 v1, v4, v1
	ds_bpermute_b32 v2, v6, v1
	s_waitcnt lgkmcnt(0)
	v_add_f32_e32 v1, v1, v2
	ds_bpermute_b32 v2, v7, v1
	;; [unrolled: 3-line block ×4, first 2 shown]
	s_and_saveexec_b64 s[4:5], s[0:1]
	s_cbranch_execz .LBB1_12
; %bb.9:
	s_waitcnt lgkmcnt(0)
	v_add_f32_e32 v1, v1, v2
	s_mov_b32 s0, 0x800000
	v_cmp_gt_f32_e32 vcc, s0, v1
	v_cndmask_b32_e64 v2, 0, 32, vcc
	v_ldexp_f32 v1, v1, v2
	v_log_f32_e32 v1, v1
	s_mov_b32 s0, 0x3f317217
	s_add_i32 s3, s19, s18
	v_mov_b32_e32 v13, s11
	v_mul_f32_e32 v2, 0x3f317217, v1
	v_fma_f32 v2, v1, s0, -v2
	v_fmac_f32_e32 v2, 0x3377d1cf, v1
	s_mov_b32 s0, 0x7f800000
	v_fmac_f32_e32 v2, 0x3f317217, v1
	v_cmp_lt_f32_e64 s[0:1], |v1|, s0
	v_cndmask_b32_e64 v1, v1, v2, s[0:1]
	v_mov_b32_e32 v2, 0x41b17218
	v_cndmask_b32_e32 v2, 0, v2, vcc
	s_lshl_b64 s[0:1], s[2:3], 2
	v_sub_f32_e32 v12, v1, v2
	v_mov_b32_e32 v1, s1
	v_add_co_u32_e32 v3, vcc, s0, v3
	v_addc_co_u32_e32 v4, vcc, 0, v1, vcc
	v_mov_b32_e32 v2, s9
	v_add_co_u32_e32 v1, vcc, s8, v3
	v_addc_co_u32_e32 v2, vcc, v2, v4, vcc
	v_add_co_u32_e32 v3, vcc, s10, v3
	v_mov_b32_e32 v11, 0
	v_addc_co_u32_e32 v4, vcc, v13, v4, vcc
	s_mov_b64 s[2:3], 0
	v_mov_b32_e32 v13, v0
.LBB1_10:                               ; =>This Inner Loop Header: Depth=1
	global_load_dword v14, v[1:2], off
	global_load_dword v15, v[3:4], off
	v_add_co_u32_e32 v1, vcc, 0x80, v1
	v_add_u32_e32 v13, 32, v13
	v_addc_co_u32_e32 v2, vcc, 0, v2, vcc
	v_add_co_u32_e32 v3, vcc, 0x80, v3
	v_cmp_le_i32_e64 s[0:1], s14, v13
	v_addc_co_u32_e32 v4, vcc, 0, v4, vcc
	s_or_b64 s[2:3], s[0:1], s[2:3]
	s_waitcnt vmcnt(1)
	v_sub_f32_e32 v14, v14, v10
	v_sub_f32_e32 v14, v14, v12
	s_waitcnt vmcnt(0)
	v_fmac_f32_e32 v11, v15, v14
	s_andn2_b64 exec, exec, s[2:3]
	s_cbranch_execnz .LBB1_10
; %bb.11:
	s_or_b64 exec, exec, s[2:3]
.LBB1_12:
	s_or_b64 exec, exec, s[4:5]
	ds_bpermute_b32 v1, v5, v11
	v_cmp_eq_u32_e32 vcc, 0, v0
	s_waitcnt lgkmcnt(0)
	v_add_f32_e32 v1, v11, v1
	ds_bpermute_b32 v2, v6, v1
	s_waitcnt lgkmcnt(0)
	v_add_f32_e32 v1, v1, v2
	ds_bpermute_b32 v2, v7, v1
	;; [unrolled: 3-line block ×4, first 2 shown]
	s_and_saveexec_b64 s[0:1], vcc
	s_cbranch_execz .LBB1_14
; %bb.13:
	v_cvt_f32_i32_e32 v0, s15
	s_waitcnt lgkmcnt(0)
	v_add_f32_e32 v1, v1, v2
	v_div_scale_f32 v2, s[0:1], v0, v0, -v1
	v_div_scale_f32 v3, vcc, -v1, v0, -v1
	s_lshl_b64 s[0:1], s[6:7], 2
	s_add_u32 s0, s12, s0
	s_addc_u32 s1, s13, s1
	v_rcp_f32_e32 v4, v2
	v_fma_f32 v5, -v2, v4, 1.0
	v_fmac_f32_e32 v4, v5, v4
	v_mul_f32_e32 v5, v3, v4
	v_fma_f32 v6, -v2, v5, v3
	v_fmac_f32_e32 v5, v6, v4
	v_fma_f32 v2, -v2, v5, v3
	v_div_fmas_f32 v2, v2, v4, v5
	v_div_fixup_f32 v0, v2, v0, -v1
	v_mov_b32_e32 v1, 0
	global_store_dword v1, v0, s[0:1]
.LBB1_14:
	s_endpgm
	.section	.rodata,"a",@progbits
	.p2align	6, 0x0
	.amdhsa_kernel _ZL22cross_entropy_loss_f32ILb0EEvPKfS1_Pfii
		.amdhsa_group_segment_fixed_size 0
		.amdhsa_private_segment_fixed_size 0
		.amdhsa_kernarg_size 32
		.amdhsa_user_sgpr_count 6
		.amdhsa_user_sgpr_private_segment_buffer 1
		.amdhsa_user_sgpr_dispatch_ptr 0
		.amdhsa_user_sgpr_queue_ptr 0
		.amdhsa_user_sgpr_kernarg_segment_ptr 1
		.amdhsa_user_sgpr_dispatch_id 0
		.amdhsa_user_sgpr_flat_scratch_init 0
		.amdhsa_user_sgpr_private_segment_size 0
		.amdhsa_uses_dynamic_stack 0
		.amdhsa_system_sgpr_private_segment_wavefront_offset 0
		.amdhsa_system_sgpr_workgroup_id_x 1
		.amdhsa_system_sgpr_workgroup_id_y 0
		.amdhsa_system_sgpr_workgroup_id_z 0
		.amdhsa_system_sgpr_workgroup_info 0
		.amdhsa_system_vgpr_workitem_id 0
		.amdhsa_next_free_vgpr 17
		.amdhsa_next_free_sgpr 22
		.amdhsa_reserve_vcc 1
		.amdhsa_reserve_flat_scratch 0
		.amdhsa_float_round_mode_32 0
		.amdhsa_float_round_mode_16_64 0
		.amdhsa_float_denorm_mode_32 3
		.amdhsa_float_denorm_mode_16_64 3
		.amdhsa_dx10_clamp 1
		.amdhsa_ieee_mode 1
		.amdhsa_fp16_overflow 0
		.amdhsa_exception_fp_ieee_invalid_op 0
		.amdhsa_exception_fp_denorm_src 0
		.amdhsa_exception_fp_ieee_div_zero 0
		.amdhsa_exception_fp_ieee_overflow 0
		.amdhsa_exception_fp_ieee_underflow 0
		.amdhsa_exception_fp_ieee_inexact 0
		.amdhsa_exception_int_div_zero 0
	.end_amdhsa_kernel
	.section	.text._ZL22cross_entropy_loss_f32ILb0EEvPKfS1_Pfii,"axG",@progbits,_ZL22cross_entropy_loss_f32ILb0EEvPKfS1_Pfii,comdat
.Lfunc_end1:
	.size	_ZL22cross_entropy_loss_f32ILb0EEvPKfS1_Pfii, .Lfunc_end1-_ZL22cross_entropy_loss_f32ILb0EEvPKfS1_Pfii
                                        ; -- End function
	.set _ZL22cross_entropy_loss_f32ILb0EEvPKfS1_Pfii.num_vgpr, 17
	.set _ZL22cross_entropy_loss_f32ILb0EEvPKfS1_Pfii.num_agpr, 0
	.set _ZL22cross_entropy_loss_f32ILb0EEvPKfS1_Pfii.numbered_sgpr, 22
	.set _ZL22cross_entropy_loss_f32ILb0EEvPKfS1_Pfii.num_named_barrier, 0
	.set _ZL22cross_entropy_loss_f32ILb0EEvPKfS1_Pfii.private_seg_size, 0
	.set _ZL22cross_entropy_loss_f32ILb0EEvPKfS1_Pfii.uses_vcc, 1
	.set _ZL22cross_entropy_loss_f32ILb0EEvPKfS1_Pfii.uses_flat_scratch, 0
	.set _ZL22cross_entropy_loss_f32ILb0EEvPKfS1_Pfii.has_dyn_sized_stack, 0
	.set _ZL22cross_entropy_loss_f32ILb0EEvPKfS1_Pfii.has_recursion, 0
	.set _ZL22cross_entropy_loss_f32ILb0EEvPKfS1_Pfii.has_indirect_call, 0
	.section	.AMDGPU.csdata,"",@progbits
; Kernel info:
; codeLenInByte = 1140
; TotalNumSgprs: 26
; NumVgprs: 17
; ScratchSize: 0
; MemoryBound: 0
; FloatMode: 240
; IeeeMode: 1
; LDSByteSize: 0 bytes/workgroup (compile time only)
; SGPRBlocks: 3
; VGPRBlocks: 4
; NumSGPRsForWavesPerEU: 26
; NumVGPRsForWavesPerEU: 17
; Occupancy: 10
; WaveLimiterHint : 0
; COMPUTE_PGM_RSRC2:SCRATCH_EN: 0
; COMPUTE_PGM_RSRC2:USER_SGPR: 6
; COMPUTE_PGM_RSRC2:TRAP_HANDLER: 0
; COMPUTE_PGM_RSRC2:TGID_X_EN: 1
; COMPUTE_PGM_RSRC2:TGID_Y_EN: 0
; COMPUTE_PGM_RSRC2:TGID_Z_EN: 0
; COMPUTE_PGM_RSRC2:TIDIG_COMP_CNT: 0
	.section	.text._ZL27cross_entropy_loss_back_f32ILb1EEvPKfS1_S1_Pfi,"axG",@progbits,_ZL27cross_entropy_loss_back_f32ILb1EEvPKfS1_S1_Pfi,comdat
	.globl	_ZL27cross_entropy_loss_back_f32ILb1EEvPKfS1_S1_Pfi ; -- Begin function _ZL27cross_entropy_loss_back_f32ILb1EEvPKfS1_S1_Pfi
	.p2align	8
	.type	_ZL27cross_entropy_loss_back_f32ILb1EEvPKfS1_S1_Pfi,@function
_ZL27cross_entropy_loss_back_f32ILb1EEvPKfS1_S1_Pfi: ; @_ZL27cross_entropy_loss_back_f32ILb1EEvPKfS1_S1_Pfi
; %bb.0:
	s_load_dword s16, s[4:5], 0x20
	s_load_dwordx2 s[12:13], s[4:5], 0x0
	s_load_dwordx4 s[8:11], s[4:5], 0x10
	v_mov_b32_e32 v4, 0xff800000
	v_lshlrev_b32_e32 v3, 2, v0
	s_waitcnt lgkmcnt(0)
	s_ashr_i32 s2, s16, 31
	v_cmp_gt_i32_e64 s[0:1], s16, v0
	s_mul_i32 s17, s2, s6
	s_mul_hi_u32 s18, s16, s6
	s_mul_i32 s2, s16, s6
	s_and_saveexec_b64 s[6:7], s[0:1]
	s_cbranch_execz .LBB2_4
; %bb.1:
	s_load_dwordx2 s[14:15], s[4:5], 0x8
	s_add_i32 s3, s18, s17
	s_lshl_b64 s[20:21], s[2:3], 2
	v_add_u32_e32 v5, 0, v3
	v_mov_b32_e32 v4, 0xff800000
	s_waitcnt lgkmcnt(0)
	s_add_u32 s3, s14, s20
	s_addc_u32 s14, s15, s21
	v_mov_b32_e32 v2, s14
	v_add_co_u32_e32 v1, vcc, s3, v3
	v_addc_co_u32_e32 v2, vcc, 0, v2, vcc
	s_mov_b64 s[14:15], 0
	v_mov_b32_e32 v6, v0
.LBB2_2:                                ; =>This Inner Loop Header: Depth=1
	global_load_dword v7, v[1:2], off
	v_add_co_u32_e32 v1, vcc, 0x80, v1
	v_add_u32_e32 v6, 32, v6
	v_addc_co_u32_e32 v2, vcc, 0, v2, vcc
	v_max_f32_e32 v4, v4, v4
	v_cmp_le_i32_e32 vcc, s16, v6
	s_or_b64 s[14:15], vcc, s[14:15]
	s_waitcnt vmcnt(0)
	v_max_f32_e32 v8, v7, v7
	ds_write_b32 v5, v7
	v_add_u32_e32 v5, 0x80, v5
	v_max_f32_e32 v4, v4, v8
	s_andn2_b64 exec, exec, s[14:15]
	s_cbranch_execnz .LBB2_2
; %bb.3:
	s_or_b64 exec, exec, s[14:15]
.LBB2_4:
	s_or_b64 exec, exec, s[6:7]
	v_mbcnt_lo_u32_b32 v1, -1, 0
	v_mbcnt_hi_u32_b32 v6, -1, v1
	v_and_b32_e32 v1, 0x60, v6
	v_add_u32_e32 v7, 32, v1
	v_xor_b32_e32 v1, 16, v6
	v_cmp_lt_i32_e32 vcc, v1, v7
	v_cndmask_b32_e32 v1, v6, v1, vcc
	v_lshlrev_b32_e32 v1, 2, v1
	ds_bpermute_b32 v2, v1, v4
	v_xor_b32_e32 v5, 8, v6
	v_max_f32_e32 v4, v4, v4
	v_cmp_lt_i32_e32 vcc, v5, v7
	v_xor_b32_e32 v8, 4, v6
	s_waitcnt lgkmcnt(0)
	v_max_f32_e32 v2, v2, v2
	v_max_f32_e32 v4, v4, v2
	v_cndmask_b32_e32 v2, v6, v5, vcc
	v_lshlrev_b32_e32 v2, 2, v2
	ds_bpermute_b32 v5, v2, v4
	v_cmp_lt_i32_e32 vcc, v8, v7
	v_xor_b32_e32 v9, 2, v6
	v_xor_b32_e32 v10, 1, v6
	s_waitcnt lgkmcnt(0)
	v_max_f32_e32 v5, v5, v5
	v_max_f32_e32 v5, v4, v5
	v_cndmask_b32_e32 v4, v6, v8, vcc
	v_lshlrev_b32_e32 v4, 2, v4
	ds_bpermute_b32 v8, v4, v5
	v_cmp_lt_i32_e32 vcc, v9, v7
	s_waitcnt lgkmcnt(0)
	v_max_f32_e32 v8, v8, v8
	v_max_f32_e32 v8, v5, v8
	v_cndmask_b32_e32 v5, v6, v9, vcc
	v_lshlrev_b32_e32 v5, 2, v5
	ds_bpermute_b32 v9, v5, v8
	v_cmp_lt_i32_e32 vcc, v10, v7
	v_cndmask_b32_e32 v6, v6, v10, vcc
	v_lshlrev_b32_e32 v6, 2, v6
	v_mov_b32_e32 v7, 0
	s_waitcnt lgkmcnt(0)
	v_max_f32_e32 v9, v9, v9
	v_max_f32_e32 v8, v8, v9
	ds_bpermute_b32 v9, v6, v8
	s_and_saveexec_b64 s[6:7], s[0:1]
	s_cbranch_execz .LBB2_8
; %bb.5:
	s_waitcnt lgkmcnt(0)
	v_max_f32_e32 v7, v9, v9
	v_max_f32_e32 v8, v8, v8
	;; [unrolled: 1-line block ×3, first 2 shown]
	v_lshl_add_u32 v9, v0, 2, 0
	v_mov_b32_e32 v7, 0
	s_mov_b64 s[14:15], 0
	s_mov_b32 s3, 0x3fb8aa3b
	s_mov_b32 s19, 0xc2ce8ed0
	s_mov_b32 s20, 0x42b17218
	v_mov_b32_e32 v10, 0x7f800000
	v_mov_b32_e32 v11, v0
.LBB2_6:                                ; =>This Inner Loop Header: Depth=1
	ds_read_b32 v12, v9
	v_add_u32_e32 v11, 32, v11
	s_waitcnt lgkmcnt(0)
	v_sub_f32_e32 v12, v12, v8
	v_mul_f32_e32 v13, 0x3fb8aa3b, v12
	v_fma_f32 v14, v12, s3, -v13
	v_rndne_f32_e32 v15, v13
	v_fmac_f32_e32 v14, 0x32a5705f, v12
	v_sub_f32_e32 v13, v13, v15
	v_add_f32_e32 v13, v13, v14
	v_cvt_i32_f32_e32 v15, v15
	v_exp_f32_e32 v13, v13
	v_cmp_ngt_f32_e32 vcc, s19, v12
	v_ldexp_f32 v13, v13, v15
	v_cndmask_b32_e32 v13, 0, v13, vcc
	v_cmp_nlt_f32_e32 vcc, s20, v12
	v_cndmask_b32_e32 v12, v10, v13, vcc
	v_cmp_le_i32_e32 vcc, s16, v11
	v_add_f32_e32 v7, v7, v12
	ds_write_b32 v9, v12
	s_or_b64 s[14:15], vcc, s[14:15]
	v_add_u32_e32 v9, 0x80, v9
	s_andn2_b64 exec, exec, s[14:15]
	s_cbranch_execnz .LBB2_6
; %bb.7:
	s_or_b64 exec, exec, s[14:15]
.LBB2_8:
	s_or_b64 exec, exec, s[6:7]
	ds_bpermute_b32 v1, v1, v7
	s_waitcnt lgkmcnt(0)
	v_add_f32_e32 v1, v7, v1
	ds_bpermute_b32 v2, v2, v1
	s_waitcnt lgkmcnt(0)
	v_add_f32_e32 v1, v1, v2
	;; [unrolled: 3-line block ×4, first 2 shown]
	ds_bpermute_b32 v2, v6, v1
	s_and_saveexec_b64 s[6:7], s[0:1]
	s_cbranch_execz .LBB2_11
; %bb.9:
	s_waitcnt lgkmcnt(0)
	v_add_f32_e32 v6, v1, v2
	s_load_dword s3, s[4:5], 0x28
	v_div_scale_f32 v1, s[0:1], v6, v6, 1.0
	s_load_dword s4, s[12:13], 0x0
	v_div_scale_f32 v2, vcc, 1.0, v6, 1.0
	s_waitcnt lgkmcnt(0)
	v_cvt_f32_u32_e32 v7, s3
	s_add_i32 s3, s18, s17
	v_add_u32_e32 v5, 0, v3
	v_mov_b32_e32 v10, s9
	v_div_scale_f32 v4, s[0:1], v7, v7, s4
	v_div_scale_f32 v8, s[0:1], s4, v7, s4
	v_mov_b32_e32 v11, s11
	v_rcp_f32_e32 v9, v1
	v_fma_f32 v12, -v1, v9, 1.0
	v_fmac_f32_e32 v9, v12, v9
	v_mul_f32_e32 v12, v2, v9
	v_fma_f32 v13, -v1, v12, v2
	v_fmac_f32_e32 v12, v13, v9
	v_rcp_f32_e32 v13, v4
	v_fma_f32 v1, -v1, v12, v2
	v_div_fmas_f32 v9, v1, v9, v12
	s_mov_b64 vcc, s[0:1]
	v_fma_f32 v1, -v4, v13, 1.0
	v_fmac_f32_e32 v13, v1, v13
	v_mul_f32_e32 v1, v8, v13
	v_fma_f32 v2, -v4, v1, v8
	v_fmac_f32_e32 v1, v2, v13
	v_fma_f32 v2, -v4, v1, v8
	v_div_fmas_f32 v8, v2, v13, v1
	s_lshl_b64 s[0:1], s[2:3], 2
	v_mov_b32_e32 v1, s1
	v_add_co_u32_e32 v3, vcc, s0, v3
	v_addc_co_u32_e32 v4, vcc, 0, v1, vcc
	v_add_co_u32_e32 v1, vcc, s8, v3
	v_addc_co_u32_e32 v2, vcc, v10, v4, vcc
	v_add_co_u32_e32 v3, vcc, s10, v3
	v_addc_co_u32_e32 v4, vcc, v11, v4, vcc
	v_div_fixup_f32 v6, v9, v6, 1.0
	v_div_fixup_f32 v7, v8, v7, s4
	s_mov_b64 s[0:1], 0
.LBB2_10:                               ; =>This Inner Loop Header: Depth=1
	global_load_dword v8, v[1:2], off
	ds_read_b32 v9, v5
	v_add_co_u32_e32 v1, vcc, 0x80, v1
	v_add_u32_e32 v0, 32, v0
	v_addc_co_u32_e32 v2, vcc, 0, v2, vcc
	v_cmp_le_i32_e32 vcc, s16, v0
	s_or_b64 s[0:1], vcc, s[0:1]
	v_add_u32_e32 v5, 0x80, v5
	s_waitcnt vmcnt(0) lgkmcnt(0)
	v_fma_f32 v8, v6, v9, -v8
	v_mul_f32_e32 v8, v7, v8
	global_store_dword v[3:4], v8, off
	v_add_co_u32_e32 v3, vcc, 0x80, v3
	v_addc_co_u32_e32 v4, vcc, 0, v4, vcc
	s_andn2_b64 exec, exec, s[0:1]
	s_cbranch_execnz .LBB2_10
.LBB2_11:
	s_endpgm
	.section	.rodata,"a",@progbits
	.p2align	6, 0x0
	.amdhsa_kernel _ZL27cross_entropy_loss_back_f32ILb1EEvPKfS1_S1_Pfi
		.amdhsa_group_segment_fixed_size 0
		.amdhsa_private_segment_fixed_size 0
		.amdhsa_kernarg_size 296
		.amdhsa_user_sgpr_count 6
		.amdhsa_user_sgpr_private_segment_buffer 1
		.amdhsa_user_sgpr_dispatch_ptr 0
		.amdhsa_user_sgpr_queue_ptr 0
		.amdhsa_user_sgpr_kernarg_segment_ptr 1
		.amdhsa_user_sgpr_dispatch_id 0
		.amdhsa_user_sgpr_flat_scratch_init 0
		.amdhsa_user_sgpr_private_segment_size 0
		.amdhsa_uses_dynamic_stack 0
		.amdhsa_system_sgpr_private_segment_wavefront_offset 0
		.amdhsa_system_sgpr_workgroup_id_x 1
		.amdhsa_system_sgpr_workgroup_id_y 0
		.amdhsa_system_sgpr_workgroup_id_z 0
		.amdhsa_system_sgpr_workgroup_info 0
		.amdhsa_system_vgpr_workitem_id 0
		.amdhsa_next_free_vgpr 16
		.amdhsa_next_free_sgpr 22
		.amdhsa_reserve_vcc 1
		.amdhsa_reserve_flat_scratch 0
		.amdhsa_float_round_mode_32 0
		.amdhsa_float_round_mode_16_64 0
		.amdhsa_float_denorm_mode_32 3
		.amdhsa_float_denorm_mode_16_64 3
		.amdhsa_dx10_clamp 1
		.amdhsa_ieee_mode 1
		.amdhsa_fp16_overflow 0
		.amdhsa_exception_fp_ieee_invalid_op 0
		.amdhsa_exception_fp_denorm_src 0
		.amdhsa_exception_fp_ieee_div_zero 0
		.amdhsa_exception_fp_ieee_overflow 0
		.amdhsa_exception_fp_ieee_underflow 0
		.amdhsa_exception_fp_ieee_inexact 0
		.amdhsa_exception_int_div_zero 0
	.end_amdhsa_kernel
	.section	.text._ZL27cross_entropy_loss_back_f32ILb1EEvPKfS1_S1_Pfi,"axG",@progbits,_ZL27cross_entropy_loss_back_f32ILb1EEvPKfS1_S1_Pfi,comdat
.Lfunc_end2:
	.size	_ZL27cross_entropy_loss_back_f32ILb1EEvPKfS1_S1_Pfi, .Lfunc_end2-_ZL27cross_entropy_loss_back_f32ILb1EEvPKfS1_S1_Pfi
                                        ; -- End function
	.set _ZL27cross_entropy_loss_back_f32ILb1EEvPKfS1_S1_Pfi.num_vgpr, 16
	.set _ZL27cross_entropy_loss_back_f32ILb1EEvPKfS1_S1_Pfi.num_agpr, 0
	.set _ZL27cross_entropy_loss_back_f32ILb1EEvPKfS1_S1_Pfi.numbered_sgpr, 22
	.set _ZL27cross_entropy_loss_back_f32ILb1EEvPKfS1_S1_Pfi.num_named_barrier, 0
	.set _ZL27cross_entropy_loss_back_f32ILb1EEvPKfS1_S1_Pfi.private_seg_size, 0
	.set _ZL27cross_entropy_loss_back_f32ILb1EEvPKfS1_S1_Pfi.uses_vcc, 1
	.set _ZL27cross_entropy_loss_back_f32ILb1EEvPKfS1_S1_Pfi.uses_flat_scratch, 0
	.set _ZL27cross_entropy_loss_back_f32ILb1EEvPKfS1_S1_Pfi.has_dyn_sized_stack, 0
	.set _ZL27cross_entropy_loss_back_f32ILb1EEvPKfS1_S1_Pfi.has_recursion, 0
	.set _ZL27cross_entropy_loss_back_f32ILb1EEvPKfS1_S1_Pfi.has_indirect_call, 0
	.section	.AMDGPU.csdata,"",@progbits
; Kernel info:
; codeLenInByte = 1032
; TotalNumSgprs: 26
; NumVgprs: 16
; ScratchSize: 0
; MemoryBound: 0
; FloatMode: 240
; IeeeMode: 1
; LDSByteSize: 0 bytes/workgroup (compile time only)
; SGPRBlocks: 3
; VGPRBlocks: 3
; NumSGPRsForWavesPerEU: 26
; NumVGPRsForWavesPerEU: 16
; Occupancy: 10
; WaveLimiterHint : 0
; COMPUTE_PGM_RSRC2:SCRATCH_EN: 0
; COMPUTE_PGM_RSRC2:USER_SGPR: 6
; COMPUTE_PGM_RSRC2:TRAP_HANDLER: 0
; COMPUTE_PGM_RSRC2:TGID_X_EN: 1
; COMPUTE_PGM_RSRC2:TGID_Y_EN: 0
; COMPUTE_PGM_RSRC2:TGID_Z_EN: 0
; COMPUTE_PGM_RSRC2:TIDIG_COMP_CNT: 0
	.section	.text._ZL27cross_entropy_loss_back_f32ILb0EEvPKfS1_S1_Pfi,"axG",@progbits,_ZL27cross_entropy_loss_back_f32ILb0EEvPKfS1_S1_Pfi,comdat
	.globl	_ZL27cross_entropy_loss_back_f32ILb0EEvPKfS1_S1_Pfi ; -- Begin function _ZL27cross_entropy_loss_back_f32ILb0EEvPKfS1_S1_Pfi
	.p2align	8
	.type	_ZL27cross_entropy_loss_back_f32ILb0EEvPKfS1_S1_Pfi,@function
_ZL27cross_entropy_loss_back_f32ILb0EEvPKfS1_S1_Pfi: ; @_ZL27cross_entropy_loss_back_f32ILb0EEvPKfS1_S1_Pfi
; %bb.0:
	s_load_dword s18, s[4:5], 0x20
	s_load_dwordx8 s[8:15], s[4:5], 0x0
	v_mov_b32_e32 v3, 0xff800000
	v_lshlrev_b32_e32 v5, 2, v0
	s_waitcnt lgkmcnt(0)
	s_ashr_i32 s2, s18, 31
	v_cmp_gt_i32_e64 s[0:1], s18, v0
	s_mul_i32 s19, s2, s6
	s_mul_hi_u32 s20, s18, s6
	s_mul_i32 s2, s18, s6
	s_and_saveexec_b64 s[6:7], s[0:1]
	s_cbranch_execz .LBB3_4
; %bb.1:
	s_add_i32 s3, s20, s19
	s_lshl_b64 s[16:17], s[2:3], 2
	s_add_u32 s3, s10, s16
	s_addc_u32 s16, s11, s17
	v_mov_b32_e32 v2, s16
	v_add_co_u32_e32 v1, vcc, s3, v5
	v_addc_co_u32_e32 v2, vcc, 0, v2, vcc
	v_mov_b32_e32 v3, 0xff800000
	s_mov_b64 s[16:17], 0
	v_mov_b32_e32 v4, v0
.LBB3_2:                                ; =>This Inner Loop Header: Depth=1
	global_load_dword v6, v[1:2], off
	v_add_co_u32_e32 v1, vcc, 0x80, v1
	v_add_u32_e32 v4, 32, v4
	v_addc_co_u32_e32 v2, vcc, 0, v2, vcc
	v_max_f32_e32 v3, v3, v3
	v_cmp_le_i32_e32 vcc, s18, v4
	s_or_b64 s[16:17], vcc, s[16:17]
	s_waitcnt vmcnt(0)
	v_max_f32_e32 v6, v6, v6
	v_max_f32_e32 v3, v3, v6
	s_andn2_b64 exec, exec, s[16:17]
	s_cbranch_execnz .LBB3_2
; %bb.3:
	s_or_b64 exec, exec, s[16:17]
.LBB3_4:
	s_or_b64 exec, exec, s[6:7]
	v_mbcnt_lo_u32_b32 v1, -1, 0
	v_mbcnt_hi_u32_b32 v2, -1, v1
	v_and_b32_e32 v1, 0x60, v2
	v_add_u32_e32 v4, 32, v1
	v_xor_b32_e32 v1, 16, v2
	v_cmp_lt_i32_e32 vcc, v1, v4
	v_cndmask_b32_e32 v1, v2, v1, vcc
	v_lshlrev_b32_e32 v6, 2, v1
	ds_bpermute_b32 v1, v6, v3
	v_xor_b32_e32 v7, 8, v2
	v_max_f32_e32 v3, v3, v3
	v_cmp_lt_i32_e32 vcc, v7, v4
	v_xor_b32_e32 v8, 4, v2
	s_waitcnt lgkmcnt(0)
	v_max_f32_e32 v1, v1, v1
	v_max_f32_e32 v1, v3, v1
	v_cndmask_b32_e32 v3, v2, v7, vcc
	v_lshlrev_b32_e32 v7, 2, v3
	ds_bpermute_b32 v3, v7, v1
	v_cmp_lt_i32_e32 vcc, v8, v4
	v_xor_b32_e32 v9, 2, v2
	v_xor_b32_e32 v10, 1, v2
	v_mov_b32_e32 v11, 0
	s_waitcnt lgkmcnt(0)
	v_max_f32_e32 v3, v3, v3
	v_max_f32_e32 v1, v1, v3
	v_cndmask_b32_e32 v3, v2, v8, vcc
	v_lshlrev_b32_e32 v8, 2, v3
	ds_bpermute_b32 v3, v8, v1
	v_cmp_lt_i32_e32 vcc, v9, v4
	s_waitcnt lgkmcnt(0)
	v_max_f32_e32 v3, v3, v3
	v_max_f32_e32 v1, v1, v3
	v_cndmask_b32_e32 v3, v2, v9, vcc
	v_lshlrev_b32_e32 v9, 2, v3
	ds_bpermute_b32 v3, v9, v1
	v_cmp_lt_i32_e32 vcc, v10, v4
	v_cndmask_b32_e32 v2, v2, v10, vcc
	v_lshlrev_b32_e32 v10, 2, v2
	s_waitcnt lgkmcnt(0)
	v_max_f32_e32 v3, v3, v3
	v_max_f32_e32 v1, v1, v3
	ds_bpermute_b32 v2, v10, v1
	s_and_saveexec_b64 s[6:7], s[0:1]
	s_cbranch_execz .LBB3_8
; %bb.5:
	s_add_i32 s3, s20, s19
	s_waitcnt lgkmcnt(0)
	v_max_f32_e32 v2, v2, v2
	v_max_f32_e32 v1, v1, v1
	s_lshl_b64 s[16:17], s[2:3], 2
	v_max_f32_e32 v12, v1, v2
	v_mov_b32_e32 v1, s17
	v_add_co_u32_e32 v3, vcc, s16, v5
	v_addc_co_u32_e32 v4, vcc, 0, v1, vcc
	v_mov_b32_e32 v2, s11
	v_add_co_u32_e32 v1, vcc, s10, v3
	v_addc_co_u32_e32 v2, vcc, v2, v4, vcc
	v_mov_b32_e32 v13, s15
	v_add_co_u32_e32 v3, vcc, s14, v3
	v_mov_b32_e32 v11, 0
	v_addc_co_u32_e32 v4, vcc, v13, v4, vcc
	s_mov_b64 s[10:11], 0
	s_mov_b32 s3, 0x3fb8aa3b
	s_mov_b32 s16, 0xc2ce8ed0
	;; [unrolled: 1-line block ×3, first 2 shown]
	v_mov_b32_e32 v13, 0x7f800000
	v_mov_b32_e32 v14, v0
.LBB3_6:                                ; =>This Inner Loop Header: Depth=1
	global_load_dword v15, v[1:2], off
	v_add_co_u32_e32 v1, vcc, 0x80, v1
	v_add_u32_e32 v14, 32, v14
	v_addc_co_u32_e32 v2, vcc, 0, v2, vcc
	v_cmp_le_i32_e32 vcc, s18, v14
	s_or_b64 s[10:11], vcc, s[10:11]
	s_waitcnt vmcnt(0)
	v_sub_f32_e32 v15, v15, v12
	v_mul_f32_e32 v16, 0x3fb8aa3b, v15
	v_fma_f32 v17, v15, s3, -v16
	v_rndne_f32_e32 v18, v16
	v_fmac_f32_e32 v17, 0x32a5705f, v15
	v_sub_f32_e32 v16, v16, v18
	v_add_f32_e32 v16, v16, v17
	v_cvt_i32_f32_e32 v18, v18
	v_exp_f32_e32 v16, v16
	v_cmp_ngt_f32_e32 vcc, s16, v15
	v_ldexp_f32 v16, v16, v18
	v_cndmask_b32_e32 v16, 0, v16, vcc
	v_cmp_nlt_f32_e32 vcc, s17, v15
	v_cndmask_b32_e32 v15, v13, v16, vcc
	global_store_dword v[3:4], v15, off
	v_add_co_u32_e32 v3, vcc, 0x80, v3
	v_add_f32_e32 v11, v11, v15
	v_addc_co_u32_e32 v4, vcc, 0, v4, vcc
	s_andn2_b64 exec, exec, s[10:11]
	s_cbranch_execnz .LBB3_6
; %bb.7:
	s_or_b64 exec, exec, s[10:11]
.LBB3_8:
	s_or_b64 exec, exec, s[6:7]
	ds_bpermute_b32 v1, v6, v11
	s_waitcnt lgkmcnt(0)
	v_add_f32_e32 v1, v11, v1
	ds_bpermute_b32 v2, v7, v1
	s_waitcnt lgkmcnt(0)
	v_add_f32_e32 v1, v1, v2
	;; [unrolled: 3-line block ×4, first 2 shown]
	ds_bpermute_b32 v2, v10, v1
	s_and_saveexec_b64 s[6:7], s[0:1]
	s_cbranch_execz .LBB3_11
; %bb.9:
	s_waitcnt lgkmcnt(0)
	v_add_f32_e32 v6, v1, v2
	s_load_dword s3, s[4:5], 0x28
	v_div_scale_f32 v1, s[0:1], v6, v6, 1.0
	s_load_dword s4, s[8:9], 0x0
	v_div_scale_f32 v2, vcc, 1.0, v6, 1.0
	s_waitcnt lgkmcnt(0)
	v_cvt_f32_u32_e32 v7, s3
	s_add_i32 s3, s20, s19
	v_mov_b32_e32 v9, s15
	v_mov_b32_e32 v10, s13
	v_div_scale_f32 v3, s[0:1], v7, v7, s4
	v_div_scale_f32 v4, s[0:1], s4, v7, s4
	v_rcp_f32_e32 v8, v1
	v_fma_f32 v11, -v1, v8, 1.0
	v_fmac_f32_e32 v8, v11, v8
	v_mul_f32_e32 v11, v2, v8
	v_fma_f32 v12, -v1, v11, v2
	v_fmac_f32_e32 v11, v12, v8
	v_rcp_f32_e32 v12, v3
	v_fma_f32 v1, -v1, v11, v2
	v_div_fmas_f32 v8, v1, v8, v11
	s_mov_b64 vcc, s[0:1]
	v_fma_f32 v1, -v3, v12, 1.0
	v_fmac_f32_e32 v12, v1, v12
	v_mul_f32_e32 v1, v4, v12
	v_fma_f32 v2, -v3, v1, v4
	v_fmac_f32_e32 v1, v2, v12
	v_fma_f32 v2, -v3, v1, v4
	v_div_fmas_f32 v11, v2, v12, v1
	s_lshl_b64 s[0:1], s[2:3], 2
	v_mov_b32_e32 v1, s1
	v_add_co_u32_e32 v3, vcc, s0, v5
	v_addc_co_u32_e32 v4, vcc, 0, v1, vcc
	v_add_co_u32_e32 v1, vcc, s14, v3
	v_addc_co_u32_e32 v2, vcc, v9, v4, vcc
	v_add_co_u32_e32 v3, vcc, s12, v3
	v_addc_co_u32_e32 v4, vcc, v10, v4, vcc
	v_div_fixup_f32 v5, v8, v6, 1.0
	v_div_fixup_f32 v6, v11, v7, s4
	s_mov_b64 s[0:1], 0
.LBB3_10:                               ; =>This Inner Loop Header: Depth=1
	global_load_dword v7, v[1:2], off
	global_load_dword v8, v[3:4], off
	v_add_u32_e32 v0, 32, v0
	v_cmp_le_i32_e32 vcc, s18, v0
	s_or_b64 s[0:1], vcc, s[0:1]
	s_waitcnt vmcnt(0)
	v_fma_f32 v7, v5, v7, -v8
	v_mul_f32_e32 v7, v6, v7
	global_store_dword v[1:2], v7, off
	v_add_co_u32_e32 v1, vcc, 0x80, v1
	v_addc_co_u32_e32 v2, vcc, 0, v2, vcc
	v_add_co_u32_e32 v3, vcc, 0x80, v3
	v_addc_co_u32_e32 v4, vcc, 0, v4, vcc
	s_andn2_b64 exec, exec, s[0:1]
	s_cbranch_execnz .LBB3_10
.LBB3_11:
	s_endpgm
	.section	.rodata,"a",@progbits
	.p2align	6, 0x0
	.amdhsa_kernel _ZL27cross_entropy_loss_back_f32ILb0EEvPKfS1_S1_Pfi
		.amdhsa_group_segment_fixed_size 0
		.amdhsa_private_segment_fixed_size 0
		.amdhsa_kernarg_size 296
		.amdhsa_user_sgpr_count 6
		.amdhsa_user_sgpr_private_segment_buffer 1
		.amdhsa_user_sgpr_dispatch_ptr 0
		.amdhsa_user_sgpr_queue_ptr 0
		.amdhsa_user_sgpr_kernarg_segment_ptr 1
		.amdhsa_user_sgpr_dispatch_id 0
		.amdhsa_user_sgpr_flat_scratch_init 0
		.amdhsa_user_sgpr_private_segment_size 0
		.amdhsa_uses_dynamic_stack 0
		.amdhsa_system_sgpr_private_segment_wavefront_offset 0
		.amdhsa_system_sgpr_workgroup_id_x 1
		.amdhsa_system_sgpr_workgroup_id_y 0
		.amdhsa_system_sgpr_workgroup_id_z 0
		.amdhsa_system_sgpr_workgroup_info 0
		.amdhsa_system_vgpr_workitem_id 0
		.amdhsa_next_free_vgpr 19
		.amdhsa_next_free_sgpr 21
		.amdhsa_reserve_vcc 1
		.amdhsa_reserve_flat_scratch 0
		.amdhsa_float_round_mode_32 0
		.amdhsa_float_round_mode_16_64 0
		.amdhsa_float_denorm_mode_32 3
		.amdhsa_float_denorm_mode_16_64 3
		.amdhsa_dx10_clamp 1
		.amdhsa_ieee_mode 1
		.amdhsa_fp16_overflow 0
		.amdhsa_exception_fp_ieee_invalid_op 0
		.amdhsa_exception_fp_denorm_src 0
		.amdhsa_exception_fp_ieee_div_zero 0
		.amdhsa_exception_fp_ieee_overflow 0
		.amdhsa_exception_fp_ieee_underflow 0
		.amdhsa_exception_fp_ieee_inexact 0
		.amdhsa_exception_int_div_zero 0
	.end_amdhsa_kernel
	.section	.text._ZL27cross_entropy_loss_back_f32ILb0EEvPKfS1_S1_Pfi,"axG",@progbits,_ZL27cross_entropy_loss_back_f32ILb0EEvPKfS1_S1_Pfi,comdat
.Lfunc_end3:
	.size	_ZL27cross_entropy_loss_back_f32ILb0EEvPKfS1_S1_Pfi, .Lfunc_end3-_ZL27cross_entropy_loss_back_f32ILb0EEvPKfS1_S1_Pfi
                                        ; -- End function
	.set _ZL27cross_entropy_loss_back_f32ILb0EEvPKfS1_S1_Pfi.num_vgpr, 19
	.set _ZL27cross_entropy_loss_back_f32ILb0EEvPKfS1_S1_Pfi.num_agpr, 0
	.set _ZL27cross_entropy_loss_back_f32ILb0EEvPKfS1_S1_Pfi.numbered_sgpr, 21
	.set _ZL27cross_entropy_loss_back_f32ILb0EEvPKfS1_S1_Pfi.num_named_barrier, 0
	.set _ZL27cross_entropy_loss_back_f32ILb0EEvPKfS1_S1_Pfi.private_seg_size, 0
	.set _ZL27cross_entropy_loss_back_f32ILb0EEvPKfS1_S1_Pfi.uses_vcc, 1
	.set _ZL27cross_entropy_loss_back_f32ILb0EEvPKfS1_S1_Pfi.uses_flat_scratch, 0
	.set _ZL27cross_entropy_loss_back_f32ILb0EEvPKfS1_S1_Pfi.has_dyn_sized_stack, 0
	.set _ZL27cross_entropy_loss_back_f32ILb0EEvPKfS1_S1_Pfi.has_recursion, 0
	.set _ZL27cross_entropy_loss_back_f32ILb0EEvPKfS1_S1_Pfi.has_indirect_call, 0
	.section	.AMDGPU.csdata,"",@progbits
; Kernel info:
; codeLenInByte = 1032
; TotalNumSgprs: 25
; NumVgprs: 19
; ScratchSize: 0
; MemoryBound: 0
; FloatMode: 240
; IeeeMode: 1
; LDSByteSize: 0 bytes/workgroup (compile time only)
; SGPRBlocks: 3
; VGPRBlocks: 4
; NumSGPRsForWavesPerEU: 25
; NumVGPRsForWavesPerEU: 19
; Occupancy: 10
; WaveLimiterHint : 0
; COMPUTE_PGM_RSRC2:SCRATCH_EN: 0
; COMPUTE_PGM_RSRC2:USER_SGPR: 6
; COMPUTE_PGM_RSRC2:TRAP_HANDLER: 0
; COMPUTE_PGM_RSRC2:TGID_X_EN: 1
; COMPUTE_PGM_RSRC2:TGID_Y_EN: 0
; COMPUTE_PGM_RSRC2:TGID_Z_EN: 0
; COMPUTE_PGM_RSRC2:TIDIG_COMP_CNT: 0
	.section	.AMDGPU.gpr_maximums,"",@progbits
	.set amdgpu.max_num_vgpr, 0
	.set amdgpu.max_num_agpr, 0
	.set amdgpu.max_num_sgpr, 0
	.section	.AMDGPU.csdata,"",@progbits
	.type	__hip_cuid_bbd1d474f207566a,@object ; @__hip_cuid_bbd1d474f207566a
	.section	.bss,"aw",@nobits
	.globl	__hip_cuid_bbd1d474f207566a
__hip_cuid_bbd1d474f207566a:
	.byte	0                               ; 0x0
	.size	__hip_cuid_bbd1d474f207566a, 1

	.ident	"AMD clang version 22.0.0git (https://github.com/RadeonOpenCompute/llvm-project roc-7.2.4 26084 f58b06dce1f9c15707c5f808fd002e18c2accf7e)"
	.section	".note.GNU-stack","",@progbits
	.addrsig
	.addrsig_sym __hip_cuid_bbd1d474f207566a
	.amdgpu_metadata
---
amdhsa.kernels:
  - .args:
      - .actual_access:  read_only
        .address_space:  global
        .offset:         0
        .size:           8
        .value_kind:     global_buffer
      - .actual_access:  read_only
        .address_space:  global
        .offset:         8
        .size:           8
        .value_kind:     global_buffer
      - .actual_access:  write_only
        .address_space:  global
        .offset:         16
        .size:           8
        .value_kind:     global_buffer
      - .offset:         24
        .size:           4
        .value_kind:     by_value
      - .offset:         28
        .size:           4
        .value_kind:     by_value
    .group_segment_fixed_size: 0
    .kernarg_segment_align: 8
    .kernarg_segment_size: 32
    .language:       OpenCL C
    .language_version:
      - 2
      - 0
    .max_flat_workgroup_size: 1024
    .name:           _ZL22cross_entropy_loss_f32ILb1EEvPKfS1_Pfii
    .private_segment_fixed_size: 0
    .sgpr_count:     24
    .sgpr_spill_count: 0
    .symbol:         _ZL22cross_entropy_loss_f32ILb1EEvPKfS1_Pfii.kd
    .uniform_work_group_size: 1
    .uses_dynamic_stack: false
    .vgpr_count:     16
    .vgpr_spill_count: 0
    .wavefront_size: 64
  - .args:
      - .actual_access:  read_only
        .address_space:  global
        .offset:         0
        .size:           8
        .value_kind:     global_buffer
      - .actual_access:  read_only
        .address_space:  global
        .offset:         8
        .size:           8
        .value_kind:     global_buffer
      - .actual_access:  write_only
        .address_space:  global
        .offset:         16
        .size:           8
        .value_kind:     global_buffer
      - .offset:         24
        .size:           4
        .value_kind:     by_value
      - .offset:         28
        .size:           4
        .value_kind:     by_value
    .group_segment_fixed_size: 0
    .kernarg_segment_align: 8
    .kernarg_segment_size: 32
    .language:       OpenCL C
    .language_version:
      - 2
      - 0
    .max_flat_workgroup_size: 1024
    .name:           _ZL22cross_entropy_loss_f32ILb0EEvPKfS1_Pfii
    .private_segment_fixed_size: 0
    .sgpr_count:     26
    .sgpr_spill_count: 0
    .symbol:         _ZL22cross_entropy_loss_f32ILb0EEvPKfS1_Pfii.kd
    .uniform_work_group_size: 1
    .uses_dynamic_stack: false
    .vgpr_count:     17
    .vgpr_spill_count: 0
    .wavefront_size: 64
  - .args:
      - .actual_access:  read_only
        .address_space:  global
        .offset:         0
        .size:           8
        .value_kind:     global_buffer
      - .actual_access:  read_only
        .address_space:  global
        .offset:         8
        .size:           8
        .value_kind:     global_buffer
      - .actual_access:  read_only
        .address_space:  global
        .offset:         16
        .size:           8
        .value_kind:     global_buffer
      - .actual_access:  write_only
        .address_space:  global
        .offset:         24
        .size:           8
        .value_kind:     global_buffer
      - .offset:         32
        .size:           4
        .value_kind:     by_value
      - .offset:         40
        .size:           4
        .value_kind:     hidden_block_count_x
      - .offset:         44
        .size:           4
        .value_kind:     hidden_block_count_y
      - .offset:         48
        .size:           4
        .value_kind:     hidden_block_count_z
      - .offset:         52
        .size:           2
        .value_kind:     hidden_group_size_x
      - .offset:         54
        .size:           2
        .value_kind:     hidden_group_size_y
      - .offset:         56
        .size:           2
        .value_kind:     hidden_group_size_z
      - .offset:         58
        .size:           2
        .value_kind:     hidden_remainder_x
      - .offset:         60
        .size:           2
        .value_kind:     hidden_remainder_y
      - .offset:         62
        .size:           2
        .value_kind:     hidden_remainder_z
      - .offset:         80
        .size:           8
        .value_kind:     hidden_global_offset_x
      - .offset:         88
        .size:           8
        .value_kind:     hidden_global_offset_y
      - .offset:         96
        .size:           8
        .value_kind:     hidden_global_offset_z
      - .offset:         104
        .size:           2
        .value_kind:     hidden_grid_dims
      - .offset:         160
        .size:           4
        .value_kind:     hidden_dynamic_lds_size
    .group_segment_fixed_size: 0
    .kernarg_segment_align: 8
    .kernarg_segment_size: 296
    .language:       OpenCL C
    .language_version:
      - 2
      - 0
    .max_flat_workgroup_size: 1024
    .name:           _ZL27cross_entropy_loss_back_f32ILb1EEvPKfS1_S1_Pfi
    .private_segment_fixed_size: 0
    .sgpr_count:     26
    .sgpr_spill_count: 0
    .symbol:         _ZL27cross_entropy_loss_back_f32ILb1EEvPKfS1_S1_Pfi.kd
    .uniform_work_group_size: 1
    .uses_dynamic_stack: false
    .vgpr_count:     16
    .vgpr_spill_count: 0
    .wavefront_size: 64
  - .args:
      - .actual_access:  read_only
        .address_space:  global
        .offset:         0
        .size:           8
        .value_kind:     global_buffer
      - .actual_access:  read_only
        .address_space:  global
        .offset:         8
        .size:           8
        .value_kind:     global_buffer
      - .actual_access:  read_only
        .address_space:  global
        .offset:         16
        .size:           8
        .value_kind:     global_buffer
      - .address_space:  global
        .offset:         24
        .size:           8
        .value_kind:     global_buffer
      - .offset:         32
        .size:           4
        .value_kind:     by_value
      - .offset:         40
        .size:           4
        .value_kind:     hidden_block_count_x
      - .offset:         44
        .size:           4
        .value_kind:     hidden_block_count_y
      - .offset:         48
        .size:           4
        .value_kind:     hidden_block_count_z
      - .offset:         52
        .size:           2
        .value_kind:     hidden_group_size_x
      - .offset:         54
        .size:           2
        .value_kind:     hidden_group_size_y
      - .offset:         56
        .size:           2
        .value_kind:     hidden_group_size_z
      - .offset:         58
        .size:           2
        .value_kind:     hidden_remainder_x
      - .offset:         60
        .size:           2
        .value_kind:     hidden_remainder_y
      - .offset:         62
        .size:           2
        .value_kind:     hidden_remainder_z
      - .offset:         80
        .size:           8
        .value_kind:     hidden_global_offset_x
      - .offset:         88
        .size:           8
        .value_kind:     hidden_global_offset_y
      - .offset:         96
        .size:           8
        .value_kind:     hidden_global_offset_z
      - .offset:         104
        .size:           2
        .value_kind:     hidden_grid_dims
    .group_segment_fixed_size: 0
    .kernarg_segment_align: 8
    .kernarg_segment_size: 296
    .language:       OpenCL C
    .language_version:
      - 2
      - 0
    .max_flat_workgroup_size: 1024
    .name:           _ZL27cross_entropy_loss_back_f32ILb0EEvPKfS1_S1_Pfi
    .private_segment_fixed_size: 0
    .sgpr_count:     25
    .sgpr_spill_count: 0
    .symbol:         _ZL27cross_entropy_loss_back_f32ILb0EEvPKfS1_S1_Pfi.kd
    .uniform_work_group_size: 1
    .uses_dynamic_stack: false
    .vgpr_count:     19
    .vgpr_spill_count: 0
    .wavefront_size: 64
amdhsa.target:   amdgcn-amd-amdhsa--gfx906
amdhsa.version:
  - 1
  - 2
...

	.end_amdgpu_metadata
